;; amdgpu-corpus repo=ROCm/rocFFT kind=compiled arch=gfx906 opt=O3
	.text
	.amdgcn_target "amdgcn-amd-amdhsa--gfx906"
	.amdhsa_code_object_version 6
	.protected	fft_rtc_back_len192_factors_6_4_4_2_wgs_128_tpt_16_halfLds_dp_op_CI_CI_unitstride_sbrr_C2R_dirReg ; -- Begin function fft_rtc_back_len192_factors_6_4_4_2_wgs_128_tpt_16_halfLds_dp_op_CI_CI_unitstride_sbrr_C2R_dirReg
	.globl	fft_rtc_back_len192_factors_6_4_4_2_wgs_128_tpt_16_halfLds_dp_op_CI_CI_unitstride_sbrr_C2R_dirReg
	.p2align	8
	.type	fft_rtc_back_len192_factors_6_4_4_2_wgs_128_tpt_16_halfLds_dp_op_CI_CI_unitstride_sbrr_C2R_dirReg,@function
fft_rtc_back_len192_factors_6_4_4_2_wgs_128_tpt_16_halfLds_dp_op_CI_CI_unitstride_sbrr_C2R_dirReg: ; @fft_rtc_back_len192_factors_6_4_4_2_wgs_128_tpt_16_halfLds_dp_op_CI_CI_unitstride_sbrr_C2R_dirReg
; %bb.0:
	s_load_dwordx4 s[8:11], s[4:5], 0x58
	s_load_dwordx4 s[12:15], s[4:5], 0x0
	;; [unrolled: 1-line block ×3, first 2 shown]
	v_lshrrev_b32_e32 v7, 4, v0
	v_mov_b32_e32 v3, 0
	v_mov_b32_e32 v1, 0
	s_waitcnt lgkmcnt(0)
	v_cmp_lt_u64_e64 s[0:1], s[14:15], 2
	v_lshl_or_b32 v5, s6, 3, v7
	v_mov_b32_e32 v6, v3
	s_and_b64 vcc, exec, s[0:1]
	v_mov_b32_e32 v2, 0
	s_cbranch_vccnz .LBB0_8
; %bb.1:
	s_load_dwordx2 s[0:1], s[4:5], 0x10
	s_add_u32 s2, s18, 8
	s_addc_u32 s3, s19, 0
	s_add_u32 s6, s16, 8
	v_mov_b32_e32 v1, 0
	s_addc_u32 s7, s17, 0
	v_mov_b32_e32 v2, 0
	s_waitcnt lgkmcnt(0)
	s_add_u32 s20, s0, 8
	v_mov_b32_e32 v9, v2
	s_addc_u32 s21, s1, 0
	s_mov_b64 s[22:23], 1
	v_mov_b32_e32 v8, v1
.LBB0_2:                                ; =>This Inner Loop Header: Depth=1
	s_load_dwordx2 s[24:25], s[20:21], 0x0
                                        ; implicit-def: $vgpr12_vgpr13
	s_waitcnt lgkmcnt(0)
	v_or_b32_e32 v4, s25, v6
	v_cmp_ne_u64_e32 vcc, 0, v[3:4]
	s_and_saveexec_b64 s[0:1], vcc
	s_xor_b64 s[26:27], exec, s[0:1]
	s_cbranch_execz .LBB0_4
; %bb.3:                                ;   in Loop: Header=BB0_2 Depth=1
	v_cvt_f32_u32_e32 v4, s24
	v_cvt_f32_u32_e32 v10, s25
	s_sub_u32 s0, 0, s24
	s_subb_u32 s1, 0, s25
	v_mac_f32_e32 v4, 0x4f800000, v10
	v_rcp_f32_e32 v4, v4
	v_mul_f32_e32 v4, 0x5f7ffffc, v4
	v_mul_f32_e32 v10, 0x2f800000, v4
	v_trunc_f32_e32 v10, v10
	v_mac_f32_e32 v4, 0xcf800000, v10
	v_cvt_u32_f32_e32 v10, v10
	v_cvt_u32_f32_e32 v4, v4
	v_mul_lo_u32 v11, s0, v10
	v_mul_hi_u32 v12, s0, v4
	v_mul_lo_u32 v14, s1, v4
	v_mul_lo_u32 v13, s0, v4
	v_add_u32_e32 v11, v12, v11
	v_add_u32_e32 v11, v11, v14
	v_mul_hi_u32 v12, v4, v13
	v_mul_lo_u32 v14, v4, v11
	v_mul_hi_u32 v16, v4, v11
	v_mul_hi_u32 v15, v10, v13
	v_mul_lo_u32 v13, v10, v13
	v_mul_hi_u32 v17, v10, v11
	v_add_co_u32_e32 v12, vcc, v12, v14
	v_addc_co_u32_e32 v14, vcc, 0, v16, vcc
	v_mul_lo_u32 v11, v10, v11
	v_add_co_u32_e32 v12, vcc, v12, v13
	v_addc_co_u32_e32 v12, vcc, v14, v15, vcc
	v_addc_co_u32_e32 v13, vcc, 0, v17, vcc
	v_add_co_u32_e32 v11, vcc, v12, v11
	v_addc_co_u32_e32 v12, vcc, 0, v13, vcc
	v_add_co_u32_e32 v4, vcc, v4, v11
	v_addc_co_u32_e32 v10, vcc, v10, v12, vcc
	v_mul_lo_u32 v11, s0, v10
	v_mul_hi_u32 v12, s0, v4
	v_mul_lo_u32 v13, s1, v4
	v_mul_lo_u32 v14, s0, v4
	v_add_u32_e32 v11, v12, v11
	v_add_u32_e32 v11, v11, v13
	v_mul_lo_u32 v15, v4, v11
	v_mul_hi_u32 v16, v4, v14
	v_mul_hi_u32 v17, v4, v11
	v_mul_hi_u32 v13, v10, v14
	v_mul_lo_u32 v14, v10, v14
	v_mul_hi_u32 v12, v10, v11
	v_add_co_u32_e32 v15, vcc, v16, v15
	v_addc_co_u32_e32 v16, vcc, 0, v17, vcc
	v_mul_lo_u32 v11, v10, v11
	v_add_co_u32_e32 v14, vcc, v15, v14
	v_addc_co_u32_e32 v13, vcc, v16, v13, vcc
	v_addc_co_u32_e32 v12, vcc, 0, v12, vcc
	v_add_co_u32_e32 v11, vcc, v13, v11
	v_addc_co_u32_e32 v12, vcc, 0, v12, vcc
	v_add_co_u32_e32 v4, vcc, v4, v11
	v_addc_co_u32_e32 v12, vcc, v10, v12, vcc
	v_mad_u64_u32 v[10:11], s[0:1], v5, v12, 0
	v_mul_hi_u32 v13, v5, v4
	v_add_co_u32_e32 v14, vcc, v13, v10
	v_addc_co_u32_e32 v15, vcc, 0, v11, vcc
	v_mad_u64_u32 v[10:11], s[0:1], v6, v4, 0
	v_mad_u64_u32 v[12:13], s[0:1], v6, v12, 0
	v_add_co_u32_e32 v4, vcc, v14, v10
	v_addc_co_u32_e32 v4, vcc, v15, v11, vcc
	v_addc_co_u32_e32 v10, vcc, 0, v13, vcc
	v_add_co_u32_e32 v4, vcc, v4, v12
	v_addc_co_u32_e32 v12, vcc, 0, v10, vcc
	v_mul_lo_u32 v13, s25, v4
	v_mul_lo_u32 v14, s24, v12
	v_mad_u64_u32 v[10:11], s[0:1], s24, v4, 0
	v_add3_u32 v11, v11, v14, v13
	v_sub_u32_e32 v13, v6, v11
	v_mov_b32_e32 v14, s25
	v_sub_co_u32_e32 v10, vcc, v5, v10
	v_subb_co_u32_e64 v13, s[0:1], v13, v14, vcc
	v_subrev_co_u32_e64 v14, s[0:1], s24, v10
	v_subbrev_co_u32_e64 v13, s[0:1], 0, v13, s[0:1]
	v_cmp_le_u32_e64 s[0:1], s25, v13
	v_cndmask_b32_e64 v15, 0, -1, s[0:1]
	v_cmp_le_u32_e64 s[0:1], s24, v14
	v_cndmask_b32_e64 v14, 0, -1, s[0:1]
	v_cmp_eq_u32_e64 s[0:1], s25, v13
	v_cndmask_b32_e64 v13, v15, v14, s[0:1]
	v_add_co_u32_e64 v14, s[0:1], 2, v4
	v_addc_co_u32_e64 v15, s[0:1], 0, v12, s[0:1]
	v_add_co_u32_e64 v16, s[0:1], 1, v4
	v_addc_co_u32_e64 v17, s[0:1], 0, v12, s[0:1]
	v_subb_co_u32_e32 v11, vcc, v6, v11, vcc
	v_cmp_ne_u32_e64 s[0:1], 0, v13
	v_cmp_le_u32_e32 vcc, s25, v11
	v_cndmask_b32_e64 v13, v17, v15, s[0:1]
	v_cndmask_b32_e64 v15, 0, -1, vcc
	v_cmp_le_u32_e32 vcc, s24, v10
	v_cndmask_b32_e64 v10, 0, -1, vcc
	v_cmp_eq_u32_e32 vcc, s25, v11
	v_cndmask_b32_e32 v10, v15, v10, vcc
	v_cmp_ne_u32_e32 vcc, 0, v10
	v_cndmask_b32_e64 v10, v16, v14, s[0:1]
	v_cndmask_b32_e32 v13, v12, v13, vcc
	v_cndmask_b32_e32 v12, v4, v10, vcc
.LBB0_4:                                ;   in Loop: Header=BB0_2 Depth=1
	s_andn2_saveexec_b64 s[0:1], s[26:27]
	s_cbranch_execz .LBB0_6
; %bb.5:                                ;   in Loop: Header=BB0_2 Depth=1
	v_cvt_f32_u32_e32 v4, s24
	s_sub_i32 s26, 0, s24
	v_mov_b32_e32 v13, v3
	v_rcp_iflag_f32_e32 v4, v4
	v_mul_f32_e32 v4, 0x4f7ffffe, v4
	v_cvt_u32_f32_e32 v4, v4
	v_mul_lo_u32 v10, s26, v4
	v_mul_hi_u32 v10, v4, v10
	v_add_u32_e32 v4, v4, v10
	v_mul_hi_u32 v4, v5, v4
	v_mul_lo_u32 v10, v4, s24
	v_add_u32_e32 v11, 1, v4
	v_sub_u32_e32 v10, v5, v10
	v_subrev_u32_e32 v12, s24, v10
	v_cmp_le_u32_e32 vcc, s24, v10
	v_cndmask_b32_e32 v10, v10, v12, vcc
	v_cndmask_b32_e32 v4, v4, v11, vcc
	v_add_u32_e32 v11, 1, v4
	v_cmp_le_u32_e32 vcc, s24, v10
	v_cndmask_b32_e32 v12, v4, v11, vcc
.LBB0_6:                                ;   in Loop: Header=BB0_2 Depth=1
	s_or_b64 exec, exec, s[0:1]
	v_mul_lo_u32 v4, v13, s24
	v_mul_lo_u32 v14, v12, s25
	v_mad_u64_u32 v[10:11], s[0:1], v12, s24, 0
	s_load_dwordx2 s[0:1], s[6:7], 0x0
	s_load_dwordx2 s[24:25], s[2:3], 0x0
	v_add3_u32 v4, v11, v14, v4
	v_sub_co_u32_e32 v5, vcc, v5, v10
	v_subb_co_u32_e32 v4, vcc, v6, v4, vcc
	s_waitcnt lgkmcnt(0)
	v_mul_lo_u32 v6, s0, v4
	v_mul_lo_u32 v10, s1, v5
	v_mad_u64_u32 v[1:2], s[0:1], s0, v5, v[1:2]
	v_mul_lo_u32 v4, s24, v4
	v_mul_lo_u32 v11, s25, v5
	v_mad_u64_u32 v[8:9], s[0:1], s24, v5, v[8:9]
	s_add_u32 s22, s22, 1
	s_addc_u32 s23, s23, 0
	s_add_u32 s2, s2, 8
	v_add3_u32 v9, v11, v9, v4
	s_addc_u32 s3, s3, 0
	v_mov_b32_e32 v4, s14
	s_add_u32 s6, s6, 8
	v_mov_b32_e32 v5, s15
	s_addc_u32 s7, s7, 0
	v_cmp_ge_u64_e32 vcc, s[22:23], v[4:5]
	s_add_u32 s20, s20, 8
	v_add3_u32 v2, v10, v2, v6
	s_addc_u32 s21, s21, 0
	s_cbranch_vccnz .LBB0_9
; %bb.7:                                ;   in Loop: Header=BB0_2 Depth=1
	v_mov_b32_e32 v5, v12
	v_mov_b32_e32 v6, v13
	s_branch .LBB0_2
.LBB0_8:
	v_mov_b32_e32 v9, v2
	v_mov_b32_e32 v13, v6
	;; [unrolled: 1-line block ×4, first 2 shown]
.LBB0_9:
	s_load_dwordx2 s[0:1], s[4:5], 0x28
	s_lshl_b64 s[6:7], s[14:15], 3
	s_add_u32 s2, s18, s6
	s_addc_u32 s3, s19, s7
	v_and_b32_e32 v10, 15, v0
	s_waitcnt lgkmcnt(0)
	v_cmp_gt_u64_e32 vcc, s[0:1], v[12:13]
	v_cmp_le_u64_e64 s[0:1], s[0:1], v[12:13]
                                        ; implicit-def: $vgpr4_vgpr5
	s_and_saveexec_b64 s[4:5], s[0:1]
	s_xor_b64 s[0:1], exec, s[4:5]
; %bb.10:
	v_and_b32_e32 v10, 15, v0
	v_mov_b32_e32 v11, 0
	v_mov_b32_e32 v4, v10
	;; [unrolled: 1-line block ×3, first 2 shown]
                                        ; implicit-def: $vgpr1_vgpr2
; %bb.11:
	s_or_saveexec_b64 s[4:5], s[0:1]
	s_load_dwordx2 s[2:3], s[2:3], 0x0
	v_mul_u32_u24_e32 v3, 0xc1, v7
	v_lshlrev_b32_e32 v53, 4, v3
                                        ; implicit-def: $vgpr14
	s_xor_b64 exec, exec, s[4:5]
	s_cbranch_execz .LBB0_15
; %bb.12:
	s_add_u32 s0, s16, s6
	s_addc_u32 s1, s17, s7
	s_load_dwordx2 s[0:1], s[0:1], 0x0
	v_mov_b32_e32 v11, s9
	v_lshlrev_b64 v[0:1], 4, v[1:2]
	s_waitcnt lgkmcnt(0)
	v_mul_lo_u32 v6, s1, v12
	v_mul_lo_u32 v7, s0, v13
	v_mad_u64_u32 v[4:5], s[0:1], s0, v12, 0
	v_add3_u32 v5, v5, v7, v6
	v_lshlrev_b64 v[4:5], 4, v[4:5]
	v_add_co_u32_e64 v2, s[0:1], s8, v4
	v_addc_co_u32_e64 v4, s[0:1], v11, v5, s[0:1]
	v_add_co_u32_e64 v0, s[0:1], v2, v0
	v_addc_co_u32_e64 v1, s[0:1], v4, v1, s[0:1]
	v_lshlrev_b32_e32 v2, 4, v10
	v_add_co_u32_e64 v50, s[0:1], v0, v2
	v_addc_co_u32_e64 v51, s[0:1], 0, v1, s[0:1]
	global_load_dwordx4 v[4:7], v[50:51], off
	global_load_dwordx4 v[14:17], v[50:51], off offset:256
	global_load_dwordx4 v[18:21], v[50:51], off offset:512
	;; [unrolled: 1-line block ×11, first 2 shown]
	v_add3_u32 v2, 0, v53, v2
	v_mov_b32_e32 v11, 0
	v_cmp_eq_u32_e64 s[0:1], 15, v10
	s_waitcnt vmcnt(11)
	ds_write_b128 v2, v[4:7]
	s_waitcnt vmcnt(10)
	ds_write_b128 v2, v[14:17] offset:256
	s_waitcnt vmcnt(9)
	ds_write_b128 v2, v[18:21] offset:512
	;; [unrolled: 2-line block ×11, first 2 shown]
	v_mov_b32_e32 v4, v10
	v_mov_b32_e32 v5, v11
	s_and_saveexec_b64 s[6:7], s[0:1]
	s_cbranch_execz .LBB0_14
; %bb.13:
	global_load_dwordx4 v[14:17], v[0:1], off offset:3072
	v_mov_b32_e32 v4, 15
	v_mov_b32_e32 v5, 0
	;; [unrolled: 1-line block ×3, first 2 shown]
	s_waitcnt vmcnt(0)
	ds_write_b128 v2, v[14:17] offset:2832
.LBB0_14:
	s_or_b64 exec, exec, s[6:7]
	v_mov_b32_e32 v14, v10
.LBB0_15:
	s_or_b64 exec, exec, s[4:5]
	v_lshl_add_u32 v51, v3, 4, 0
	v_lshlrev_b32_e32 v19, 4, v10
	v_add_u32_e32 v52, v51, v19
	s_waitcnt lgkmcnt(0)
	s_barrier
	v_sub_u32_e32 v20, v51, v19
	ds_read_b64 v[6:7], v52
	ds_read_b64 v[17:18], v20 offset:3072
	v_lshlrev_b64 v[15:16], 4, v[4:5]
	v_cmp_ne_u32_e64 s[0:1], 0, v10
	s_waitcnt lgkmcnt(0)
	v_add_f64 v[0:1], v[6:7], v[17:18]
	v_add_f64 v[2:3], v[6:7], -v[17:18]
	s_and_saveexec_b64 s[4:5], s[0:1]
	s_xor_b64 s[4:5], exec, s[4:5]
	s_cbranch_execz .LBB0_17
; %bb.16:
	v_mov_b32_e32 v1, s13
	v_add_co_u32_e64 v0, s[0:1], s12, v15
	v_addc_co_u32_e64 v1, s[0:1], v1, v16, s[0:1]
	global_load_dwordx4 v[2:5], v[0:1], off offset:2976
	ds_read_b64 v[0:1], v20 offset:3080
	ds_read_b64 v[21:22], v52 offset:8
	v_add_f64 v[23:24], v[6:7], v[17:18]
	v_add_f64 v[17:18], v[6:7], -v[17:18]
	s_waitcnt lgkmcnt(0)
	v_add_f64 v[6:7], v[0:1], v[21:22]
	v_add_f64 v[0:1], v[21:22], -v[0:1]
	s_waitcnt vmcnt(0)
	v_fma_f64 v[21:22], v[17:18], v[4:5], v[23:24]
	v_fma_f64 v[23:24], -v[17:18], v[4:5], v[23:24]
	v_fma_f64 v[25:26], v[6:7], v[4:5], -v[0:1]
	v_fma_f64 v[27:28], v[6:7], v[4:5], v[0:1]
	v_fma_f64 v[0:1], -v[6:7], v[2:3], v[21:22]
	v_fma_f64 v[4:5], v[6:7], v[2:3], v[23:24]
	v_fma_f64 v[6:7], v[17:18], v[2:3], v[25:26]
	;; [unrolled: 1-line block ×3, first 2 shown]
	ds_write_b128 v20, v[4:7] offset:3072
.LBB0_17:
	s_andn2_saveexec_b64 s[0:1], s[4:5]
	s_cbranch_execz .LBB0_19
; %bb.18:
	ds_read_b128 v[4:7], v51 offset:1536
	s_waitcnt lgkmcnt(0)
	v_add_f64 v[4:5], v[4:5], v[4:5]
	v_mul_f64 v[6:7], v[6:7], -2.0
	ds_write_b128 v51, v[4:7] offset:1536
.LBB0_19:
	s_or_b64 exec, exec, s[0:1]
	v_mov_b32_e32 v11, 0
	s_add_u32 s0, s12, 0xba0
	v_lshlrev_b64 v[17:18], 4, v[10:11]
	s_addc_u32 s1, s13, 0
	v_mov_b32_e32 v4, s1
	v_add_co_u32_e64 v33, s[0:1], s0, v17
	v_addc_co_u32_e64 v34, s[0:1], v4, v18, s[0:1]
	global_load_dwordx4 v[4:7], v[33:34], off offset:256
	global_load_dwordx4 v[21:24], v[33:34], off offset:512
	ds_write_b128 v52, v[0:3]
	ds_read_b128 v[0:3], v52 offset:256
	ds_read_b128 v[25:28], v20 offset:2816
	global_load_dwordx4 v[29:32], v[33:34], off offset:768
	v_add3_u32 v54, 0, v19, v53
	s_movk_i32 s0, 0x50
	s_mov_b32 s4, 0xe8584caa
	s_waitcnt lgkmcnt(0)
	v_add_f64 v[35:36], v[0:1], v[25:26]
	v_add_f64 v[37:38], v[27:28], v[2:3]
	v_add_f64 v[39:40], v[0:1], -v[25:26]
	v_add_f64 v[0:1], v[2:3], -v[27:28]
	s_mov_b32 s5, 0xbfebb67a
	s_mov_b32 s1, 0x3febb67a
	s_movk_i32 s6, 0xab
	s_waitcnt vmcnt(2)
	v_fma_f64 v[2:3], v[39:40], v[6:7], v[35:36]
	v_fma_f64 v[25:26], v[37:38], v[6:7], v[0:1]
	v_fma_f64 v[27:28], -v[39:40], v[6:7], v[35:36]
	v_fma_f64 v[6:7], v[37:38], v[6:7], -v[0:1]
	v_fma_f64 v[0:1], -v[37:38], v[4:5], v[2:3]
	v_fma_f64 v[2:3], v[39:40], v[4:5], v[25:26]
	v_fma_f64 v[25:26], v[37:38], v[4:5], v[27:28]
	;; [unrolled: 1-line block ×3, first 2 shown]
	ds_write_b128 v52, v[0:3] offset:256
	ds_write_b128 v20, v[25:28] offset:2816
	ds_read_b128 v[0:3], v52 offset:512
	ds_read_b128 v[4:7], v20 offset:2560
	global_load_dwordx4 v[25:28], v[33:34], off offset:1024
	s_waitcnt lgkmcnt(0)
	v_add_f64 v[35:36], v[0:1], v[4:5]
	v_add_f64 v[37:38], v[6:7], v[2:3]
	v_add_f64 v[39:40], v[0:1], -v[4:5]
	v_add_f64 v[0:1], v[2:3], -v[6:7]
	s_waitcnt vmcnt(2)
	v_fma_f64 v[2:3], v[39:40], v[23:24], v[35:36]
	v_fma_f64 v[4:5], v[37:38], v[23:24], v[0:1]
	v_fma_f64 v[6:7], -v[39:40], v[23:24], v[35:36]
	v_fma_f64 v[23:24], v[37:38], v[23:24], -v[0:1]
	v_fma_f64 v[0:1], -v[37:38], v[21:22], v[2:3]
	v_fma_f64 v[2:3], v[39:40], v[21:22], v[4:5]
	v_fma_f64 v[4:5], v[37:38], v[21:22], v[6:7]
	;; [unrolled: 1-line block ×3, first 2 shown]
	ds_write_b128 v52, v[0:3] offset:512
	ds_write_b128 v20, v[4:7] offset:2560
	ds_read_b128 v[0:3], v52 offset:768
	ds_read_b128 v[4:7], v20 offset:2304
	global_load_dwordx4 v[21:24], v[33:34], off offset:1280
	s_waitcnt lgkmcnt(0)
	v_add_f64 v[33:34], v[0:1], v[4:5]
	v_add_f64 v[35:36], v[6:7], v[2:3]
	v_add_f64 v[37:38], v[0:1], -v[4:5]
	v_add_f64 v[0:1], v[2:3], -v[6:7]
	s_waitcnt vmcnt(2)
	v_fma_f64 v[2:3], v[37:38], v[31:32], v[33:34]
	v_fma_f64 v[4:5], v[35:36], v[31:32], v[0:1]
	v_fma_f64 v[6:7], -v[37:38], v[31:32], v[33:34]
	v_fma_f64 v[31:32], v[35:36], v[31:32], -v[0:1]
	v_fma_f64 v[0:1], -v[35:36], v[29:30], v[2:3]
	v_fma_f64 v[2:3], v[37:38], v[29:30], v[4:5]
	v_fma_f64 v[4:5], v[35:36], v[29:30], v[6:7]
	;; [unrolled: 1-line block ×3, first 2 shown]
	ds_write_b128 v52, v[0:3] offset:768
	ds_write_b128 v20, v[4:7] offset:2304
	ds_read_b128 v[0:3], v52 offset:1024
	ds_read_b128 v[4:7], v20 offset:2048
	s_waitcnt lgkmcnt(0)
	v_add_f64 v[29:30], v[0:1], v[4:5]
	v_add_f64 v[31:32], v[6:7], v[2:3]
	v_add_f64 v[33:34], v[0:1], -v[4:5]
	v_add_f64 v[0:1], v[2:3], -v[6:7]
	s_waitcnt vmcnt(1)
	v_fma_f64 v[2:3], v[33:34], v[27:28], v[29:30]
	v_fma_f64 v[4:5], v[31:32], v[27:28], v[0:1]
	v_fma_f64 v[6:7], -v[33:34], v[27:28], v[29:30]
	v_fma_f64 v[27:28], v[31:32], v[27:28], -v[0:1]
	v_fma_f64 v[0:1], -v[31:32], v[25:26], v[2:3]
	v_fma_f64 v[2:3], v[33:34], v[25:26], v[4:5]
	v_fma_f64 v[4:5], v[31:32], v[25:26], v[6:7]
	;; [unrolled: 1-line block ×3, first 2 shown]
	ds_write_b128 v52, v[0:3] offset:1024
	ds_write_b128 v20, v[4:7] offset:2048
	ds_read_b128 v[0:3], v52 offset:1280
	ds_read_b128 v[4:7], v20 offset:1792
	s_waitcnt lgkmcnt(0)
	v_add_f64 v[25:26], v[0:1], v[4:5]
	v_add_f64 v[27:28], v[6:7], v[2:3]
	v_add_f64 v[29:30], v[0:1], -v[4:5]
	v_add_f64 v[0:1], v[2:3], -v[6:7]
	s_waitcnt vmcnt(0)
	v_fma_f64 v[2:3], v[29:30], v[23:24], v[25:26]
	v_fma_f64 v[4:5], v[27:28], v[23:24], v[0:1]
	v_fma_f64 v[6:7], -v[29:30], v[23:24], v[25:26]
	v_fma_f64 v[23:24], v[27:28], v[23:24], -v[0:1]
	v_fma_f64 v[0:1], -v[27:28], v[21:22], v[2:3]
	v_fma_f64 v[2:3], v[29:30], v[21:22], v[4:5]
	v_fma_f64 v[4:5], v[27:28], v[21:22], v[6:7]
	;; [unrolled: 1-line block ×3, first 2 shown]
	ds_write_b128 v52, v[0:3] offset:1280
	ds_write_b128 v20, v[4:7] offset:1792
	s_waitcnt lgkmcnt(0)
	s_barrier
	s_barrier
	ds_read_b128 v[0:3], v54 offset:1024
	ds_read_b128 v[4:7], v52
	ds_read_b128 v[27:30], v54 offset:2048
	ds_read_b128 v[31:34], v54 offset:1536
	;; [unrolled: 1-line block ×4, first 2 shown]
	s_waitcnt lgkmcnt(4)
	v_add_f64 v[43:44], v[4:5], v[0:1]
	v_add_f64 v[45:46], v[6:7], v[2:3]
	s_waitcnt lgkmcnt(3)
	v_add_f64 v[47:48], v[0:1], v[27:28]
	v_add_f64 v[49:50], v[2:3], v[29:30]
	;; [unrolled: 3-line block ×3, first 2 shown]
	s_waitcnt lgkmcnt(0)
	v_add_f64 v[61:62], v[33:34], v[41:42]
	v_add_f64 v[21:22], v[2:3], -v[29:30]
	v_add_f64 v[19:20], v[0:1], -v[27:28]
	ds_read_b128 v[0:3], v54 offset:256
	v_add_f64 v[63:64], v[43:44], v[27:28]
	v_add_f64 v[65:66], v[45:46], v[29:30]
	ds_read_b128 v[43:46], v54 offset:1280
	v_fma_f64 v[29:30], v[47:48], -0.5, v[4:5]
	v_fma_f64 v[27:28], v[49:50], -0.5, v[6:7]
	ds_read_b128 v[4:7], v54 offset:2304
	v_add_f64 v[59:60], v[31:32], v[39:40]
	v_add_f64 v[23:24], v[33:34], -v[41:42]
	v_add_f64 v[25:26], v[31:32], -v[39:40]
	v_add_f64 v[67:68], v[55:56], v[39:40]
	v_add_f64 v[69:70], v[57:58], v[41:42]
	ds_read_b128 v[55:58], v54 offset:2816
	s_waitcnt lgkmcnt(2)
	v_add_f64 v[39:40], v[0:1], v[43:44]
	v_add_f64 v[47:48], v[2:3], v[45:46]
	v_fma_f64 v[41:42], v[61:62], -0.5, v[37:38]
	s_waitcnt lgkmcnt(1)
	v_add_f64 v[37:38], v[43:44], v[4:5]
	v_add_f64 v[49:50], v[45:46], v[6:7]
	v_fma_f64 v[33:34], v[59:60], -0.5, v[35:36]
	v_add_f64 v[35:36], v[45:46], -v[6:7]
	v_add_f64 v[31:32], v[43:44], -v[4:5]
	v_add_f64 v[71:72], v[39:40], v[4:5]
	v_add_f64 v[73:74], v[47:48], v[6:7]
	ds_read_b128 v[4:7], v54 offset:768
	v_fma_f64 v[39:40], v[37:38], -0.5, v[0:1]
	v_fma_f64 v[37:38], v[49:50], -0.5, v[2:3]
	ds_read_b128 v[0:3], v54 offset:1792
	s_waitcnt lgkmcnt(0)
	s_barrier
	v_add_f64 v[45:46], v[4:5], v[0:1]
	v_add_f64 v[49:50], v[6:7], v[2:3]
	v_add_f64 v[59:60], v[0:1], v[55:56]
	v_add_f64 v[61:62], v[2:3], v[57:58]
	v_add_f64 v[47:48], v[0:1], -v[55:56]
	v_add_f64 v[43:44], v[2:3], -v[57:58]
	v_add_f64 v[55:56], v[45:46], v[55:56]
	v_add_f64 v[75:76], v[49:50], v[57:58]
	v_fma_f64 v[45:46], v[59:60], -0.5, v[4:5]
	v_add_f64 v[57:58], v[63:64], v[67:68]
	v_add_f64 v[59:60], v[65:66], v[69:70]
	v_fma_f64 v[49:50], v[61:62], -0.5, v[6:7]
	v_add_f64 v[61:62], v[63:64], -v[67:68]
	v_add_f64 v[63:64], v[65:66], -v[69:70]
	v_add_f64 v[0:1], v[71:72], v[55:56]
	v_add_f64 v[4:5], v[71:72], -v[55:56]
	v_mad_u32_u24 v56, v10, s0, v54
	s_mov_b32 s0, s4
	v_add_f64 v[2:3], v[73:74], v[75:76]
	ds_write_b128 v56, v[57:60]
	ds_write_b128 v56, v[61:64] offset:48
	v_fma_f64 v[57:58], v[25:26], s[0:1], v[41:42]
	v_add_f64 v[6:7], v[73:74], -v[75:76]
	v_fma_f64 v[25:26], v[25:26], s[4:5], v[41:42]
	v_fma_f64 v[41:42], v[21:22], s[4:5], v[29:30]
	;; [unrolled: 1-line block ×9, first 2 shown]
	ds_write_b128 v56, v[0:3] offset:1536
	ds_write_b128 v56, v[4:7] offset:1584
	v_mul_f64 v[0:1], v[57:58], s[4:5]
	v_mul_f64 v[2:3], v[57:58], 0.5
	v_mul_f64 v[4:5], v[25:26], s[4:5]
	v_mul_f64 v[6:7], v[25:26], -0.5
	v_fma_f64 v[49:50], v[35:36], s[4:5], v[39:40]
	v_fma_f64 v[39:40], v[35:36], s[0:1], v[39:40]
	;; [unrolled: 1-line block ×6, first 2 shown]
	v_mul_lo_u16_sdwa v43, v10, s6 dst_sel:DWORD dst_unused:UNUSED_PAD src0_sel:BYTE_0 src1_sel:DWORD
	v_lshrrev_b16_e32 v72, 10, v43
	v_mul_lo_u16_e32 v43, 6, v72
	v_mul_f64 v[25:26], v[33:34], s[4:5]
	v_mul_f64 v[33:34], v[33:34], 0.5
	v_sub_u16_e32 v73, v10, v43
	v_mul_f64 v[43:44], v[47:48], s[4:5]
	v_mul_f64 v[45:46], v[47:48], -0.5
	v_fma_f64 v[47:48], v[19:20], 0.5, v[0:1]
	v_fma_f64 v[19:20], v[19:20], s[0:1], v[2:3]
	v_fma_f64 v[57:58], v[23:24], -0.5, v[4:5]
	v_fma_f64 v[61:62], v[23:24], s[0:1], v[6:7]
	v_fma_f64 v[63:64], v[31:32], 0.5, v[25:26]
	v_fma_f64 v[33:34], v[31:32], s[0:1], v[33:34]
	v_fma_f64 v[43:44], v[37:38], -0.5, v[43:44]
	v_fma_f64 v[45:46], v[37:38], s[0:1], v[45:46]
	v_mov_b32_e32 v55, 4
	v_mul_lo_u16_e32 v0, 3, v73
	v_lshlrev_b32_sdwa v65, v55, v0 dst_sel:DWORD dst_unused:UNUSED_PAD src0_sel:DWORD src1_sel:BYTE_0
	v_add_f64 v[0:1], v[41:42], v[47:48]
	v_add_f64 v[2:3], v[21:22], v[19:20]
	v_add_f64 v[6:7], v[21:22], -v[19:20]
	v_add_f64 v[19:20], v[29:30], v[57:58]
	v_add_f64 v[21:22], v[27:28], v[61:62]
	v_add_f64 v[4:5], v[41:42], -v[47:48]
	v_add_f64 v[23:24], v[29:30], -v[57:58]
	v_add_f64 v[25:26], v[27:28], -v[61:62]
	v_add_f64 v[27:28], v[49:50], v[63:64]
	v_add_f64 v[29:30], v[35:36], v[33:34]
	v_add_f64 v[33:34], v[35:36], -v[33:34]
	v_add_f64 v[35:36], v[39:40], v[43:44]
	v_add_f64 v[37:38], v[59:60], v[45:46]
	v_add_f64 v[31:32], v[49:50], -v[63:64]
	v_add_f64 v[39:40], v[39:40], -v[43:44]
	;; [unrolled: 1-line block ×3, first 2 shown]
	ds_write_b128 v56, v[0:3] offset:16
	ds_write_b128 v56, v[19:22] offset:32
	;; [unrolled: 1-line block ×8, first 2 shown]
	s_waitcnt lgkmcnt(0)
	s_barrier
	global_load_dwordx4 v[0:3], v65, s[12:13]
	global_load_dwordx4 v[19:22], v65, s[12:13] offset:16
	global_load_dwordx4 v[23:26], v65, s[12:13] offset:32
	v_or_b32_e32 v5, 16, v10
	v_mul_lo_u16_sdwa v4, v5, s6 dst_sel:DWORD dst_unused:UNUSED_PAD src0_sel:BYTE_0 src1_sel:DWORD
	v_lshrrev_b16_e32 v74, 10, v4
	v_mul_lo_u16_e32 v4, 6, v74
	v_sub_u16_e32 v75, v5, v4
	v_mul_lo_u16_e32 v4, 3, v75
	v_lshlrev_b32_sdwa v4, v55, v4 dst_sel:DWORD dst_unused:UNUSED_PAD src0_sel:DWORD src1_sel:BYTE_0
	global_load_dwordx4 v[27:30], v4, s[12:13]
	global_load_dwordx4 v[31:34], v4, s[12:13] offset:16
	global_load_dwordx4 v[35:38], v4, s[12:13] offset:32
	s_movk_i32 s0, 0xffb0
	v_mad_i32_i24 v4, v10, s0, v56
	ds_read_b128 v[39:42], v4 offset:768
	ds_read_b128 v[43:46], v54 offset:1536
	v_cmp_gt_u32_e64 s[0:1], 24, v5
	s_waitcnt vmcnt(5) lgkmcnt(1)
	v_mul_f64 v[6:7], v[41:42], v[2:3]
	v_mul_f64 v[2:3], v[39:40], v[2:3]
	v_fma_f64 v[39:40], v[39:40], v[0:1], v[6:7]
	s_waitcnt vmcnt(4) lgkmcnt(0)
	v_mul_f64 v[6:7], v[45:46], v[21:22]
	v_mul_f64 v[21:22], v[43:44], v[21:22]
	v_fma_f64 v[41:42], v[41:42], v[0:1], -v[2:3]
	ds_read_b128 v[0:3], v54 offset:2304
	v_fma_f64 v[6:7], v[43:44], v[19:20], v[6:7]
	v_fma_f64 v[43:44], v[45:46], v[19:20], -v[21:22]
	s_waitcnt vmcnt(3) lgkmcnt(0)
	v_mul_f64 v[45:46], v[2:3], v[25:26]
	v_mul_f64 v[25:26], v[0:1], v[25:26]
	ds_read_b128 v[19:22], v4 offset:1024
	v_fma_f64 v[45:46], v[0:1], v[23:24], v[45:46]
	v_fma_f64 v[47:48], v[2:3], v[23:24], -v[25:26]
	ds_read_b128 v[23:26], v54 offset:1792
	s_waitcnt vmcnt(2) lgkmcnt(1)
	v_mul_f64 v[0:1], v[21:22], v[29:30]
	v_mul_f64 v[2:3], v[19:20], v[29:30]
	s_waitcnt vmcnt(1) lgkmcnt(0)
	v_mul_f64 v[29:30], v[23:24], v[33:34]
	v_add_f64 v[45:46], v[39:40], -v[45:46]
	v_add_f64 v[47:48], v[41:42], -v[47:48]
	v_fma_f64 v[0:1], v[19:20], v[27:28], v[0:1]
	v_fma_f64 v[2:3], v[21:22], v[27:28], -v[2:3]
	v_mul_f64 v[27:28], v[25:26], v[33:34]
	ds_read_b128 v[19:22], v54 offset:2560
	v_fma_f64 v[56:57], v[25:26], v[31:32], -v[29:30]
	v_or_b32_e32 v33, 32, v10
	s_waitcnt vmcnt(0) lgkmcnt(0)
	v_mul_f64 v[25:26], v[19:20], v[37:38]
	v_fma_f64 v[49:50], v[23:24], v[31:32], v[27:28]
	v_mul_f64 v[23:24], v[21:22], v[37:38]
	v_mul_lo_u16_sdwa v27, v33, s6 dst_sel:DWORD dst_unused:UNUSED_PAD src0_sel:BYTE_0 src1_sel:DWORD
	v_lshrrev_b16_e32 v76, 10, v27
	v_mul_lo_u16_e32 v27, 6, v76
	v_sub_u16_e32 v77, v33, v27
	v_mul_lo_u16_e32 v27, 3, v77
	v_lshlrev_b32_sdwa v29, v55, v27 dst_sel:DWORD dst_unused:UNUSED_PAD src0_sel:DWORD src1_sel:BYTE_0
	v_fma_f64 v[37:38], v[19:20], v[35:36], v[23:24]
	v_fma_f64 v[35:36], v[21:22], v[35:36], -v[25:26]
	global_load_dwordx4 v[19:22], v29, s[12:13]
	ds_read_b128 v[23:26], v4 offset:1280
	s_waitcnt vmcnt(0) lgkmcnt(0)
	v_mul_f64 v[27:28], v[25:26], v[21:22]
	v_mul_f64 v[21:22], v[23:24], v[21:22]
	v_fma_f64 v[58:59], v[23:24], v[19:20], v[27:28]
	v_fma_f64 v[60:61], v[25:26], v[19:20], -v[21:22]
	global_load_dwordx4 v[19:22], v29, s[12:13] offset:16
	ds_read_b128 v[23:26], v54 offset:2048
	s_waitcnt vmcnt(0) lgkmcnt(0)
	v_mul_f64 v[27:28], v[25:26], v[21:22]
	v_mul_f64 v[21:22], v[23:24], v[21:22]
	v_fma_f64 v[62:63], v[23:24], v[19:20], v[27:28]
	v_fma_f64 v[64:65], v[25:26], v[19:20], -v[21:22]
	global_load_dwordx4 v[19:22], v29, s[12:13] offset:32
	ds_read_b128 v[23:26], v54 offset:2816
	s_waitcnt vmcnt(0) lgkmcnt(0)
	v_mul_f64 v[27:28], v[25:26], v[21:22]
	v_mul_f64 v[21:22], v[23:24], v[21:22]
	v_fma_f64 v[66:67], v[23:24], v[19:20], v[27:28]
	v_fma_f64 v[68:69], v[25:26], v[19:20], -v[21:22]
	ds_read_b128 v[19:22], v52
	ds_read_b128 v[27:30], v4 offset:512
	ds_read_b128 v[31:34], v4 offset:256
	s_waitcnt lgkmcnt(0)
	s_barrier
	v_add_f64 v[6:7], v[19:20], -v[6:7]
	v_add_f64 v[25:26], v[21:22], -v[43:44]
	v_fma_f64 v[43:44], v[19:20], 2.0, -v[6:7]
	v_fma_f64 v[70:71], v[21:22], 2.0, -v[25:26]
	v_add_f64 v[19:20], v[6:7], v[47:48]
	v_add_f64 v[21:22], v[25:26], -v[45:46]
	v_fma_f64 v[23:24], v[6:7], 2.0, -v[19:20]
	v_fma_f64 v[25:26], v[25:26], 2.0, -v[21:22]
	v_mul_lo_u16_e32 v6, 24, v72
	v_or_b32_e32 v6, v6, v73
	v_lshlrev_b32_sdwa v6, v55, v6 dst_sel:DWORD dst_unused:UNUSED_PAD src0_sel:DWORD src1_sel:BYTE_0
	v_add3_u32 v7, 0, v6, v53
	ds_write_b128 v7, v[19:22] offset:288
	ds_write_b128 v7, v[23:26] offset:96
	v_fma_f64 v[19:20], v[39:40], 2.0, -v[45:46]
	v_fma_f64 v[21:22], v[41:42], 2.0, -v[47:48]
	v_add_f64 v[39:40], v[31:32], -v[49:50]
	v_add_f64 v[41:42], v[33:34], -v[56:57]
	;; [unrolled: 1-line block ×4, first 2 shown]
	v_mul_lo_u16_e32 v6, 24, v74
	v_add_f64 v[19:20], v[43:44], -v[19:20]
	v_add_f64 v[21:22], v[70:71], -v[21:22]
	v_fma_f64 v[45:46], v[33:34], 2.0, -v[41:42]
	v_add_f64 v[33:34], v[58:59], -v[66:67]
	v_fma_f64 v[56:57], v[27:28], 2.0, -v[47:48]
	v_or_b32_e32 v27, v6, v75
	v_mul_lo_u16_e32 v28, 24, v76
	v_fma_f64 v[23:24], v[43:44], 2.0, -v[19:20]
	v_fma_f64 v[25:26], v[70:71], 2.0, -v[21:22]
	ds_write_b128 v7, v[19:22] offset:192
	v_add_f64 v[21:22], v[0:1], -v[37:38]
	v_add_f64 v[19:20], v[2:3], -v[35:36]
	v_fma_f64 v[43:44], v[31:32], 2.0, -v[39:40]
	v_add_f64 v[31:32], v[60:61], -v[68:69]
	v_fma_f64 v[62:63], v[29:30], 2.0, -v[49:50]
	v_or_b32_e32 v35, v28, v77
	v_lshlrev_b32_sdwa v36, v55, v27 dst_sel:DWORD dst_unused:UNUSED_PAD src0_sel:DWORD src1_sel:BYTE_0
	v_fma_f64 v[27:28], v[58:59], 2.0, -v[33:34]
	v_fma_f64 v[0:1], v[0:1], 2.0, -v[21:22]
	;; [unrolled: 1-line block ×3, first 2 shown]
	v_add_f64 v[19:20], v[39:40], v[19:20]
	v_fma_f64 v[29:30], v[60:61], 2.0, -v[31:32]
	v_add_f64 v[21:22], v[41:42], -v[21:22]
	v_add_f64 v[31:32], v[47:48], v[31:32]
	v_add_f64 v[33:34], v[49:50], -v[33:34]
	v_add_f64 v[27:28], v[56:57], -v[27:28]
	;; [unrolled: 1-line block ×4, first 2 shown]
	v_lshlrev_b32_sdwa v55, v55, v35 dst_sel:DWORD dst_unused:UNUSED_PAD src0_sel:DWORD src1_sel:BYTE_0
	v_add_f64 v[29:30], v[62:63], -v[29:30]
	v_add3_u32 v58, 0, v36, v53
	v_fma_f64 v[39:40], v[39:40], 2.0, -v[19:20]
	v_fma_f64 v[41:42], v[41:42], 2.0, -v[21:22]
	v_mul_u32_u24_e32 v6, 3, v10
	v_fma_f64 v[35:36], v[43:44], 2.0, -v[0:1]
	v_fma_f64 v[37:38], v[45:46], 2.0, -v[2:3]
	;; [unrolled: 1-line block ×6, first 2 shown]
	v_lshlrev_b32_e32 v6, 4, v6
	v_add3_u32 v55, 0, v55, v53
	ds_write_b128 v7, v[23:26]
	ds_write_b128 v58, v[35:38]
	ds_write_b128 v58, v[39:42] offset:96
	ds_write_b128 v58, v[0:3] offset:192
	;; [unrolled: 1-line block ×3, first 2 shown]
	ds_write_b128 v55, v[43:46]
	ds_write_b128 v55, v[47:50] offset:96
	ds_write_b128 v55, v[27:30] offset:192
	;; [unrolled: 1-line block ×3, first 2 shown]
	s_waitcnt lgkmcnt(0)
	s_barrier
	global_load_dwordx4 v[0:3], v6, s[12:13] offset:288
	global_load_dwordx4 v[19:22], v6, s[12:13] offset:304
	;; [unrolled: 1-line block ×3, first 2 shown]
	v_add_u32_e32 v7, -8, v10
	v_cndmask_b32_e64 v69, v7, v5, s[0:1]
	v_mul_i32_i24_e32 v10, 3, v69
	v_lshlrev_b64 v[27:28], 4, v[10:11]
	v_mov_b32_e32 v29, s13
	v_add_co_u32_e64 v39, s[0:1], s12, v27
	v_addc_co_u32_e64 v40, s[0:1], v29, v28, s[0:1]
	global_load_dwordx4 v[27:30], v[39:40], off offset:288
	global_load_dwordx4 v[31:34], v[39:40], off offset:304
	;; [unrolled: 1-line block ×3, first 2 shown]
	ds_read_b128 v[39:42], v4 offset:768
	ds_read_b128 v[43:46], v54 offset:1536
	global_load_dwordx4 v[47:50], v6, s[12:13] offset:672
	v_cmp_lt_u32_e64 s[0:1], 23, v5
	s_waitcnt vmcnt(6) lgkmcnt(1)
	v_mul_f64 v[55:56], v[41:42], v[2:3]
	v_mul_f64 v[2:3], v[39:40], v[2:3]
	v_fma_f64 v[39:40], v[39:40], v[0:1], v[55:56]
	v_fma_f64 v[41:42], v[41:42], v[0:1], -v[2:3]
	ds_read_b128 v[0:3], v54 offset:2304
	s_waitcnt vmcnt(5) lgkmcnt(1)
	v_mul_f64 v[55:56], v[45:46], v[21:22]
	v_mul_f64 v[21:22], v[43:44], v[21:22]
	v_fma_f64 v[43:44], v[43:44], v[19:20], v[55:56]
	v_fma_f64 v[45:46], v[45:46], v[19:20], -v[21:22]
	global_load_dwordx4 v[19:22], v6, s[12:13] offset:688
	s_waitcnt vmcnt(5) lgkmcnt(0)
	v_mul_f64 v[55:56], v[2:3], v[25:26]
	v_mul_f64 v[25:26], v[0:1], v[25:26]
	v_fma_f64 v[55:56], v[0:1], v[23:24], v[55:56]
	v_fma_f64 v[23:24], v[2:3], v[23:24], -v[25:26]
	ds_read_b128 v[0:3], v4 offset:1024
	s_waitcnt vmcnt(4) lgkmcnt(0)
	v_mul_f64 v[25:26], v[2:3], v[29:30]
	v_mul_f64 v[29:30], v[0:1], v[29:30]
	v_add_f64 v[67:68], v[41:42], -v[23:24]
	v_add_f64 v[55:56], v[39:40], -v[55:56]
	v_fma_f64 v[57:58], v[0:1], v[27:28], v[25:26]
	v_fma_f64 v[59:60], v[2:3], v[27:28], -v[29:30]
	ds_read_b128 v[0:3], v54 offset:1792
	s_waitcnt vmcnt(3) lgkmcnt(0)
	v_mul_f64 v[25:26], v[2:3], v[33:34]
	v_mul_f64 v[27:28], v[0:1], v[33:34]
	v_fma_f64 v[33:34], v[0:1], v[31:32], v[25:26]
	v_fma_f64 v[31:32], v[2:3], v[31:32], -v[27:28]
	ds_read_b128 v[0:3], v54 offset:2560
	s_waitcnt vmcnt(2) lgkmcnt(0)
	v_mul_f64 v[25:26], v[2:3], v[37:38]
	v_mul_f64 v[27:28], v[0:1], v[37:38]
	;; [unrolled: 6-line block ×4, first 2 shown]
	v_fma_f64 v[61:62], v[0:1], v[19:20], v[25:26]
	v_fma_f64 v[63:64], v[2:3], v[19:20], -v[21:22]
	global_load_dwordx4 v[0:3], v6, s[12:13] offset:704
	ds_read_b128 v[19:22], v54 offset:2816
	s_waitcnt vmcnt(0) lgkmcnt(0)
	v_mul_f64 v[6:7], v[21:22], v[2:3]
	v_mul_f64 v[2:3], v[19:20], v[2:3]
	v_fma_f64 v[6:7], v[19:20], v[0:1], v[6:7]
	v_fma_f64 v[65:66], v[21:22], v[0:1], -v[2:3]
	ds_read_b128 v[0:3], v52
	ds_read_b128 v[23:26], v4 offset:512
	ds_read_b128 v[27:30], v4 offset:256
	s_waitcnt lgkmcnt(0)
	s_barrier
	v_add_f64 v[19:20], v[0:1], -v[43:44]
	v_add_f64 v[21:22], v[2:3], -v[45:46]
	v_add_f64 v[61:62], v[23:24], -v[61:62]
	v_add_f64 v[63:64], v[25:26], -v[63:64]
	v_add_f64 v[5:6], v[49:50], -v[6:7]
	v_add_u32_e32 v7, 0x800, v4
	v_fma_f64 v[43:44], v[0:1], 2.0, -v[19:20]
	v_fma_f64 v[45:46], v[2:3], 2.0, -v[21:22]
	v_add_f64 v[0:1], v[19:20], v[67:68]
	v_add_f64 v[2:3], v[21:22], -v[55:56]
	v_fma_f64 v[19:20], v[19:20], 2.0, -v[0:1]
	v_fma_f64 v[21:22], v[21:22], 2.0, -v[2:3]
	ds_write_b128 v54, v[0:3] offset:1152
	ds_write_b128 v54, v[19:22] offset:384
	v_mov_b32_e32 v0, 0x60
	v_cndmask_b32_e64 v0, 0, v0, s[0:1]
	v_or_b32_e32 v0, v0, v69
	v_lshlrev_b32_e32 v0, 4, v0
	v_fma_f64 v[19:20], v[39:40], 2.0, -v[55:56]
	v_add3_u32 v10, 0, v0, v53
	v_add_f64 v[55:56], v[27:28], -v[33:34]
	v_add_f64 v[69:70], v[29:30], -v[31:32]
	v_add_f64 v[2:3], v[57:58], -v[37:38]
	v_add_f64 v[0:1], v[59:60], -v[35:36]
	v_add_f64 v[31:32], v[47:48], -v[65:66]
	v_fma_f64 v[21:22], v[41:42], 2.0, -v[67:68]
	v_fma_f64 v[33:34], v[49:50], 2.0, -v[5:6]
	v_add_f64 v[19:20], v[43:44], -v[19:20]
	v_fma_f64 v[39:40], v[27:28], 2.0, -v[55:56]
	v_fma_f64 v[41:42], v[29:30], 2.0, -v[69:70]
	v_fma_f64 v[27:28], v[57:58], 2.0, -v[2:3]
	v_fma_f64 v[29:30], v[59:60], 2.0, -v[0:1]
	v_fma_f64 v[57:58], v[23:24], 2.0, -v[61:62]
	v_fma_f64 v[59:60], v[25:26], 2.0, -v[63:64]
	v_fma_f64 v[35:36], v[47:48], 2.0, -v[31:32]
	v_add_f64 v[21:22], v[45:46], -v[21:22]
	v_add_f64 v[0:1], v[55:56], v[0:1]
	v_add_f64 v[2:3], v[69:70], -v[2:3]
	v_add_f64 v[23:24], v[39:40], -v[27:28]
	;; [unrolled: 1-line block ×3, first 2 shown]
	v_add_f64 v[27:28], v[61:62], v[31:32]
	v_add_f64 v[31:32], v[57:58], -v[33:34]
	v_add_f64 v[33:34], v[59:60], -v[35:36]
	;; [unrolled: 1-line block ×3, first 2 shown]
	v_fma_f64 v[35:36], v[43:44], 2.0, -v[19:20]
	v_fma_f64 v[37:38], v[45:46], 2.0, -v[21:22]
	;; [unrolled: 1-line block ×10, first 2 shown]
	ds_write_b128 v54, v[19:22] offset:768
	ds_write_b128 v54, v[35:38]
	ds_write_b128 v10, v[39:42]
	ds_write_b128 v10, v[43:46] offset:384
	ds_write_b128 v10, v[23:26] offset:768
	;; [unrolled: 1-line block ×3, first 2 shown]
	ds_write2_b64 v4, v[5:6], v[55:56] offset0:208 offset1:209
	ds_write_b128 v54, v[47:50] offset:2048
	ds_write_b128 v54, v[31:34] offset:2432
	;; [unrolled: 1-line block ×3, first 2 shown]
	v_mov_b32_e32 v1, s13
	v_add_co_u32_e64 v0, s[0:1], s12, v15
	v_addc_co_u32_e64 v1, s[0:1], v1, v16, s[0:1]
	s_waitcnt lgkmcnt(0)
	s_barrier
	global_load_dwordx4 v[0:3], v[0:1], off offset:1440
	v_mov_b32_e32 v6, s13
	v_add_co_u32_e64 v5, s[0:1], s12, v17
	v_addc_co_u32_e64 v6, s[0:1], v6, v18, s[0:1]
	global_load_dwordx4 v[15:18], v[5:6], off offset:1696
	global_load_dwordx4 v[19:22], v[5:6], off offset:1952
	;; [unrolled: 1-line block ×5, first 2 shown]
	ds_read_b128 v[35:38], v54 offset:1536
	ds_read_b128 v[39:42], v54 offset:1792
	;; [unrolled: 1-line block ×4, first 2 shown]
	s_waitcnt vmcnt(5) lgkmcnt(3)
	v_mul_f64 v[5:6], v[37:38], v[2:3]
	v_mul_f64 v[2:3], v[35:36], v[2:3]
	s_waitcnt vmcnt(4) lgkmcnt(2)
	v_mul_f64 v[55:56], v[41:42], v[17:18]
	v_mul_f64 v[17:18], v[39:40], v[17:18]
	v_fma_f64 v[5:6], v[35:36], v[0:1], v[5:6]
	v_fma_f64 v[35:36], v[37:38], v[0:1], -v[2:3]
	s_waitcnt vmcnt(3) lgkmcnt(1)
	v_mul_f64 v[37:38], v[45:46], v[21:22]
	v_mul_f64 v[21:22], v[43:44], v[21:22]
	v_fma_f64 v[55:56], v[39:40], v[15:16], v[55:56]
	s_waitcnt vmcnt(2) lgkmcnt(0)
	v_mul_f64 v[39:40], v[49:50], v[25:26]
	ds_read_b128 v[0:3], v54 offset:2560
	v_fma_f64 v[41:42], v[41:42], v[15:16], -v[17:18]
	v_mul_f64 v[25:26], v[47:48], v[25:26]
	v_fma_f64 v[43:44], v[43:44], v[19:20], v[37:38]
	v_fma_f64 v[45:46], v[45:46], v[19:20], -v[21:22]
	ds_read_b128 v[15:18], v54 offset:2816
	ds_read_b128 v[19:22], v52
	s_waitcnt vmcnt(1) lgkmcnt(2)
	v_mul_f64 v[37:38], v[2:3], v[29:30]
	v_mul_f64 v[29:30], v[0:1], v[29:30]
	v_fma_f64 v[47:48], v[47:48], v[23:24], v[39:40]
	s_waitcnt vmcnt(0) lgkmcnt(1)
	v_mul_f64 v[39:40], v[17:18], v[33:34]
	v_mul_f64 v[52:53], v[15:16], v[33:34]
	v_fma_f64 v[49:50], v[49:50], v[23:24], -v[25:26]
	s_waitcnt lgkmcnt(0)
	v_add_f64 v[25:26], v[21:22], -v[35:36]
	ds_read_b128 v[33:36], v4 offset:256
	v_add_f64 v[23:24], v[19:20], -v[5:6]
	v_fma_f64 v[5:6], v[0:1], v[27:28], v[37:38]
	v_fma_f64 v[57:58], v[2:3], v[27:28], -v[29:30]
	ds_read_b128 v[0:3], v4 offset:512
	ds_read_b128 v[27:30], v4 offset:768
	v_fma_f64 v[59:60], v[15:16], v[31:32], v[39:40]
	v_fma_f64 v[31:32], v[17:18], v[31:32], -v[52:53]
	s_waitcnt lgkmcnt(2)
	v_add_f64 v[52:53], v[33:34], -v[55:56]
	v_add_f64 v[41:42], v[35:36], -v[41:42]
	ds_read_b128 v[15:18], v4 offset:1024
	ds_read_b128 v[37:40], v4 offset:1280
	s_waitcnt lgkmcnt(3)
	v_add_f64 v[43:44], v[0:1], -v[43:44]
	v_add_f64 v[45:46], v[2:3], -v[45:46]
	s_waitcnt lgkmcnt(2)
	v_add_f64 v[47:48], v[27:28], -v[47:48]
	v_add_f64 v[49:50], v[29:30], -v[49:50]
	;; [unrolled: 3-line block ×3, first 2 shown]
	v_fma_f64 v[19:20], v[19:20], 2.0, -v[23:24]
	v_fma_f64 v[21:22], v[21:22], 2.0, -v[25:26]
	s_waitcnt lgkmcnt(0)
	v_add_f64 v[57:58], v[37:38], -v[59:60]
	v_add_f64 v[59:60], v[39:40], -v[31:32]
	s_barrier
	ds_write_b128 v54, v[23:26] offset:1536
	v_fma_f64 v[23:24], v[33:34], 2.0, -v[52:53]
	v_fma_f64 v[25:26], v[35:36], 2.0, -v[41:42]
	;; [unrolled: 1-line block ×10, first 2 shown]
	ds_write_b128 v54, v[19:22]
	ds_write_b128 v4, v[23:26] offset:256
	ds_write2_b64 v4, v[52:53], v[41:42] offset0:224 offset1:225
	ds_write_b128 v4, v[0:3] offset:512
	ds_write2_b64 v7, v[43:44], v[45:46] offset1:1
	ds_write_b128 v4, v[27:30] offset:768
	ds_write2_b64 v7, v[47:48], v[49:50] offset0:32 offset1:33
	ds_write_b128 v4, v[15:18] offset:1024
	ds_write2_b64 v7, v[5:6], v[55:56] offset0:64 offset1:65
	;; [unrolled: 2-line block ×3, first 2 shown]
	s_waitcnt lgkmcnt(0)
	s_barrier
	s_and_saveexec_b64 s[0:1], vcc
	s_cbranch_execz .LBB0_21
; %bb.20:
	v_mul_lo_u32 v0, s3, v12
	v_mul_lo_u32 v1, s2, v13
	v_mad_u64_u32 v[4:5], s[0:1], s2, v12, 0
	v_mov_b32_e32 v6, s11
	v_lshl_add_u32 v12, v14, 4, v51
	v_add3_u32 v5, v5, v1, v0
	v_lshlrev_b64 v[4:5], 4, v[4:5]
	v_mov_b32_e32 v15, v11
	v_add_co_u32_e32 v7, vcc, s10, v4
	v_addc_co_u32_e32 v6, vcc, v6, v5, vcc
	v_lshlrev_b64 v[4:5], 4, v[8:9]
	ds_read_b128 v[0:3], v12
	v_add_co_u32_e32 v13, vcc, v7, v4
	v_addc_co_u32_e32 v16, vcc, v6, v5, vcc
	v_lshlrev_b64 v[4:5], 4, v[14:15]
	v_add_u32_e32 v10, 16, v14
	v_add_co_u32_e32 v8, vcc, v13, v4
	v_addc_co_u32_e32 v9, vcc, v16, v5, vcc
	ds_read_b128 v[4:7], v12 offset:256
	s_waitcnt lgkmcnt(1)
	global_store_dwordx4 v[8:9], v[0:3], off
	s_nop 0
	v_lshlrev_b64 v[0:1], 4, v[10:11]
	v_add_u32_e32 v10, 32, v14
	v_add_co_u32_e32 v0, vcc, v13, v0
	v_addc_co_u32_e32 v1, vcc, v16, v1, vcc
	s_waitcnt lgkmcnt(0)
	global_store_dwordx4 v[0:1], v[4:7], off
	ds_read_b128 v[0:3], v12 offset:512
	v_lshlrev_b64 v[4:5], 4, v[10:11]
	v_add_u32_e32 v10, 48, v14
	v_add_co_u32_e32 v8, vcc, v13, v4
	v_addc_co_u32_e32 v9, vcc, v16, v5, vcc
	ds_read_b128 v[4:7], v12 offset:768
	s_waitcnt lgkmcnt(1)
	global_store_dwordx4 v[8:9], v[0:3], off
	s_nop 0
	v_lshlrev_b64 v[0:1], 4, v[10:11]
	v_add_u32_e32 v10, 64, v14
	v_add_co_u32_e32 v0, vcc, v13, v0
	v_addc_co_u32_e32 v1, vcc, v16, v1, vcc
	s_waitcnt lgkmcnt(0)
	global_store_dwordx4 v[0:1], v[4:7], off
	ds_read_b128 v[0:3], v12 offset:1024
	;; [unrolled: 15-line block ×5, first 2 shown]
	v_lshlrev_b64 v[4:5], 4, v[10:11]
	v_add_u32_e32 v10, 0xb0, v14
	v_add_co_u32_e32 v8, vcc, v13, v4
	v_addc_co_u32_e32 v9, vcc, v16, v5, vcc
	ds_read_b128 v[4:7], v12 offset:2816
	s_waitcnt lgkmcnt(1)
	global_store_dwordx4 v[8:9], v[0:3], off
	s_nop 0
	v_lshlrev_b64 v[0:1], 4, v[10:11]
	v_add_co_u32_e32 v0, vcc, v13, v0
	v_addc_co_u32_e32 v1, vcc, v16, v1, vcc
	s_waitcnt lgkmcnt(0)
	global_store_dwordx4 v[0:1], v[4:7], off
.LBB0_21:
	s_endpgm
	.section	.rodata,"a",@progbits
	.p2align	6, 0x0
	.amdhsa_kernel fft_rtc_back_len192_factors_6_4_4_2_wgs_128_tpt_16_halfLds_dp_op_CI_CI_unitstride_sbrr_C2R_dirReg
		.amdhsa_group_segment_fixed_size 0
		.amdhsa_private_segment_fixed_size 0
		.amdhsa_kernarg_size 104
		.amdhsa_user_sgpr_count 6
		.amdhsa_user_sgpr_private_segment_buffer 1
		.amdhsa_user_sgpr_dispatch_ptr 0
		.amdhsa_user_sgpr_queue_ptr 0
		.amdhsa_user_sgpr_kernarg_segment_ptr 1
		.amdhsa_user_sgpr_dispatch_id 0
		.amdhsa_user_sgpr_flat_scratch_init 0
		.amdhsa_user_sgpr_private_segment_size 0
		.amdhsa_uses_dynamic_stack 0
		.amdhsa_system_sgpr_private_segment_wavefront_offset 0
		.amdhsa_system_sgpr_workgroup_id_x 1
		.amdhsa_system_sgpr_workgroup_id_y 0
		.amdhsa_system_sgpr_workgroup_id_z 0
		.amdhsa_system_sgpr_workgroup_info 0
		.amdhsa_system_vgpr_workitem_id 0
		.amdhsa_next_free_vgpr 78
		.amdhsa_next_free_sgpr 28
		.amdhsa_reserve_vcc 1
		.amdhsa_reserve_flat_scratch 0
		.amdhsa_float_round_mode_32 0
		.amdhsa_float_round_mode_16_64 0
		.amdhsa_float_denorm_mode_32 3
		.amdhsa_float_denorm_mode_16_64 3
		.amdhsa_dx10_clamp 1
		.amdhsa_ieee_mode 1
		.amdhsa_fp16_overflow 0
		.amdhsa_exception_fp_ieee_invalid_op 0
		.amdhsa_exception_fp_denorm_src 0
		.amdhsa_exception_fp_ieee_div_zero 0
		.amdhsa_exception_fp_ieee_overflow 0
		.amdhsa_exception_fp_ieee_underflow 0
		.amdhsa_exception_fp_ieee_inexact 0
		.amdhsa_exception_int_div_zero 0
	.end_amdhsa_kernel
	.text
.Lfunc_end0:
	.size	fft_rtc_back_len192_factors_6_4_4_2_wgs_128_tpt_16_halfLds_dp_op_CI_CI_unitstride_sbrr_C2R_dirReg, .Lfunc_end0-fft_rtc_back_len192_factors_6_4_4_2_wgs_128_tpt_16_halfLds_dp_op_CI_CI_unitstride_sbrr_C2R_dirReg
                                        ; -- End function
	.section	.AMDGPU.csdata,"",@progbits
; Kernel info:
; codeLenInByte = 7372
; NumSgprs: 32
; NumVgprs: 78
; ScratchSize: 0
; MemoryBound: 0
; FloatMode: 240
; IeeeMode: 1
; LDSByteSize: 0 bytes/workgroup (compile time only)
; SGPRBlocks: 3
; VGPRBlocks: 19
; NumSGPRsForWavesPerEU: 32
; NumVGPRsForWavesPerEU: 78
; Occupancy: 3
; WaveLimiterHint : 1
; COMPUTE_PGM_RSRC2:SCRATCH_EN: 0
; COMPUTE_PGM_RSRC2:USER_SGPR: 6
; COMPUTE_PGM_RSRC2:TRAP_HANDLER: 0
; COMPUTE_PGM_RSRC2:TGID_X_EN: 1
; COMPUTE_PGM_RSRC2:TGID_Y_EN: 0
; COMPUTE_PGM_RSRC2:TGID_Z_EN: 0
; COMPUTE_PGM_RSRC2:TIDIG_COMP_CNT: 0
	.type	__hip_cuid_3174aa9d2aaed72f,@object ; @__hip_cuid_3174aa9d2aaed72f
	.section	.bss,"aw",@nobits
	.globl	__hip_cuid_3174aa9d2aaed72f
__hip_cuid_3174aa9d2aaed72f:
	.byte	0                               ; 0x0
	.size	__hip_cuid_3174aa9d2aaed72f, 1

	.ident	"AMD clang version 19.0.0git (https://github.com/RadeonOpenCompute/llvm-project roc-6.4.0 25133 c7fe45cf4b819c5991fe208aaa96edf142730f1d)"
	.section	".note.GNU-stack","",@progbits
	.addrsig
	.addrsig_sym __hip_cuid_3174aa9d2aaed72f
	.amdgpu_metadata
---
amdhsa.kernels:
  - .args:
      - .actual_access:  read_only
        .address_space:  global
        .offset:         0
        .size:           8
        .value_kind:     global_buffer
      - .offset:         8
        .size:           8
        .value_kind:     by_value
      - .actual_access:  read_only
        .address_space:  global
        .offset:         16
        .size:           8
        .value_kind:     global_buffer
      - .actual_access:  read_only
        .address_space:  global
        .offset:         24
        .size:           8
        .value_kind:     global_buffer
      - .actual_access:  read_only
        .address_space:  global
        .offset:         32
        .size:           8
        .value_kind:     global_buffer
      - .offset:         40
        .size:           8
        .value_kind:     by_value
      - .actual_access:  read_only
        .address_space:  global
        .offset:         48
        .size:           8
        .value_kind:     global_buffer
      - .actual_access:  read_only
        .address_space:  global
        .offset:         56
        .size:           8
        .value_kind:     global_buffer
      - .offset:         64
        .size:           4
        .value_kind:     by_value
      - .actual_access:  read_only
        .address_space:  global
        .offset:         72
        .size:           8
        .value_kind:     global_buffer
      - .actual_access:  read_only
        .address_space:  global
        .offset:         80
        .size:           8
        .value_kind:     global_buffer
      - .actual_access:  read_only
        .address_space:  global
        .offset:         88
        .size:           8
        .value_kind:     global_buffer
      - .actual_access:  write_only
        .address_space:  global
        .offset:         96
        .size:           8
        .value_kind:     global_buffer
    .group_segment_fixed_size: 0
    .kernarg_segment_align: 8
    .kernarg_segment_size: 104
    .language:       OpenCL C
    .language_version:
      - 2
      - 0
    .max_flat_workgroup_size: 128
    .name:           fft_rtc_back_len192_factors_6_4_4_2_wgs_128_tpt_16_halfLds_dp_op_CI_CI_unitstride_sbrr_C2R_dirReg
    .private_segment_fixed_size: 0
    .sgpr_count:     32
    .sgpr_spill_count: 0
    .symbol:         fft_rtc_back_len192_factors_6_4_4_2_wgs_128_tpt_16_halfLds_dp_op_CI_CI_unitstride_sbrr_C2R_dirReg.kd
    .uniform_work_group_size: 1
    .uses_dynamic_stack: false
    .vgpr_count:     78
    .vgpr_spill_count: 0
    .wavefront_size: 64
amdhsa.target:   amdgcn-amd-amdhsa--gfx906
amdhsa.version:
  - 1
  - 2
...

	.end_amdgpu_metadata
